;; amdgpu-corpus repo=ROCm/rocFFT kind=compiled arch=gfx1030 opt=O3
	.text
	.amdgcn_target "amdgcn-amd-amdhsa--gfx1030"
	.amdhsa_code_object_version 6
	.protected	fft_rtc_fwd_len1500_factors_5_10_10_3_wgs_150_tpt_150_halfLds_half_ip_CI_unitstride_sbrr_dirReg ; -- Begin function fft_rtc_fwd_len1500_factors_5_10_10_3_wgs_150_tpt_150_halfLds_half_ip_CI_unitstride_sbrr_dirReg
	.globl	fft_rtc_fwd_len1500_factors_5_10_10_3_wgs_150_tpt_150_halfLds_half_ip_CI_unitstride_sbrr_dirReg
	.p2align	8
	.type	fft_rtc_fwd_len1500_factors_5_10_10_3_wgs_150_tpt_150_halfLds_half_ip_CI_unitstride_sbrr_dirReg,@function
fft_rtc_fwd_len1500_factors_5_10_10_3_wgs_150_tpt_150_halfLds_half_ip_CI_unitstride_sbrr_dirReg: ; @fft_rtc_fwd_len1500_factors_5_10_10_3_wgs_150_tpt_150_halfLds_half_ip_CI_unitstride_sbrr_dirReg
; %bb.0:
	s_clause 0x2
	s_load_dwordx4 s[8:11], s[4:5], 0x0
	s_load_dwordx2 s[2:3], s[4:5], 0x50
	s_load_dwordx2 s[12:13], s[4:5], 0x18
	v_mul_u32_u24_e32 v1, 0x1b5, v0
	v_mov_b32_e32 v3, 0
	v_add_nc_u32_sdwa v5, s6, v1 dst_sel:DWORD dst_unused:UNUSED_PAD src0_sel:DWORD src1_sel:WORD_1
	v_mov_b32_e32 v1, 0
	v_mov_b32_e32 v6, v3
	v_mov_b32_e32 v2, 0
	s_waitcnt lgkmcnt(0)
	v_cmp_lt_u64_e64 s0, s[10:11], 2
	s_and_b32 vcc_lo, exec_lo, s0
	s_cbranch_vccnz .LBB0_8
; %bb.1:
	s_load_dwordx2 s[0:1], s[4:5], 0x10
	v_mov_b32_e32 v1, 0
	s_add_u32 s6, s12, 8
	v_mov_b32_e32 v2, 0
	s_addc_u32 s7, s13, 0
	s_mov_b64 s[16:17], 1
	s_waitcnt lgkmcnt(0)
	s_add_u32 s14, s0, 8
	s_addc_u32 s15, s1, 0
.LBB0_2:                                ; =>This Inner Loop Header: Depth=1
	s_load_dwordx2 s[18:19], s[14:15], 0x0
                                        ; implicit-def: $vgpr7_vgpr8
	s_mov_b32 s0, exec_lo
	s_waitcnt lgkmcnt(0)
	v_or_b32_e32 v4, s19, v6
	v_cmpx_ne_u64_e32 0, v[3:4]
	s_xor_b32 s1, exec_lo, s0
	s_cbranch_execz .LBB0_4
; %bb.3:                                ;   in Loop: Header=BB0_2 Depth=1
	v_cvt_f32_u32_e32 v4, s18
	v_cvt_f32_u32_e32 v7, s19
	s_sub_u32 s0, 0, s18
	s_subb_u32 s20, 0, s19
	v_fmac_f32_e32 v4, 0x4f800000, v7
	v_rcp_f32_e32 v4, v4
	v_mul_f32_e32 v4, 0x5f7ffffc, v4
	v_mul_f32_e32 v7, 0x2f800000, v4
	v_trunc_f32_e32 v7, v7
	v_fmac_f32_e32 v4, 0xcf800000, v7
	v_cvt_u32_f32_e32 v7, v7
	v_cvt_u32_f32_e32 v4, v4
	v_mul_lo_u32 v8, s0, v7
	v_mul_hi_u32 v9, s0, v4
	v_mul_lo_u32 v10, s20, v4
	v_add_nc_u32_e32 v8, v9, v8
	v_mul_lo_u32 v9, s0, v4
	v_add_nc_u32_e32 v8, v8, v10
	v_mul_hi_u32 v10, v4, v9
	v_mul_lo_u32 v11, v4, v8
	v_mul_hi_u32 v12, v4, v8
	v_mul_hi_u32 v13, v7, v9
	v_mul_lo_u32 v9, v7, v9
	v_mul_hi_u32 v14, v7, v8
	v_mul_lo_u32 v8, v7, v8
	v_add_co_u32 v10, vcc_lo, v10, v11
	v_add_co_ci_u32_e32 v11, vcc_lo, 0, v12, vcc_lo
	v_add_co_u32 v9, vcc_lo, v10, v9
	v_add_co_ci_u32_e32 v9, vcc_lo, v11, v13, vcc_lo
	v_add_co_ci_u32_e32 v10, vcc_lo, 0, v14, vcc_lo
	v_add_co_u32 v8, vcc_lo, v9, v8
	v_add_co_ci_u32_e32 v9, vcc_lo, 0, v10, vcc_lo
	v_add_co_u32 v4, vcc_lo, v4, v8
	v_add_co_ci_u32_e32 v7, vcc_lo, v7, v9, vcc_lo
	v_mul_hi_u32 v8, s0, v4
	v_mul_lo_u32 v10, s20, v4
	v_mul_lo_u32 v9, s0, v7
	v_add_nc_u32_e32 v8, v8, v9
	v_mul_lo_u32 v9, s0, v4
	v_add_nc_u32_e32 v8, v8, v10
	v_mul_hi_u32 v10, v4, v9
	v_mul_lo_u32 v11, v4, v8
	v_mul_hi_u32 v12, v4, v8
	v_mul_hi_u32 v13, v7, v9
	v_mul_lo_u32 v9, v7, v9
	v_mul_hi_u32 v14, v7, v8
	v_mul_lo_u32 v8, v7, v8
	v_add_co_u32 v10, vcc_lo, v10, v11
	v_add_co_ci_u32_e32 v11, vcc_lo, 0, v12, vcc_lo
	v_add_co_u32 v9, vcc_lo, v10, v9
	v_add_co_ci_u32_e32 v9, vcc_lo, v11, v13, vcc_lo
	v_add_co_ci_u32_e32 v10, vcc_lo, 0, v14, vcc_lo
	v_add_co_u32 v8, vcc_lo, v9, v8
	v_add_co_ci_u32_e32 v9, vcc_lo, 0, v10, vcc_lo
	v_add_co_u32 v4, vcc_lo, v4, v8
	v_add_co_ci_u32_e32 v11, vcc_lo, v7, v9, vcc_lo
	v_mul_hi_u32 v13, v5, v4
	v_mad_u64_u32 v[9:10], null, v6, v4, 0
	v_mad_u64_u32 v[7:8], null, v5, v11, 0
	;; [unrolled: 1-line block ×3, first 2 shown]
	v_add_co_u32 v4, vcc_lo, v13, v7
	v_add_co_ci_u32_e32 v7, vcc_lo, 0, v8, vcc_lo
	v_add_co_u32 v4, vcc_lo, v4, v9
	v_add_co_ci_u32_e32 v4, vcc_lo, v7, v10, vcc_lo
	v_add_co_ci_u32_e32 v7, vcc_lo, 0, v12, vcc_lo
	v_add_co_u32 v4, vcc_lo, v4, v11
	v_add_co_ci_u32_e32 v9, vcc_lo, 0, v7, vcc_lo
	v_mul_lo_u32 v10, s19, v4
	v_mad_u64_u32 v[7:8], null, s18, v4, 0
	v_mul_lo_u32 v11, s18, v9
	v_sub_co_u32 v7, vcc_lo, v5, v7
	v_add3_u32 v8, v8, v11, v10
	v_sub_nc_u32_e32 v10, v6, v8
	v_subrev_co_ci_u32_e64 v10, s0, s19, v10, vcc_lo
	v_add_co_u32 v11, s0, v4, 2
	v_add_co_ci_u32_e64 v12, s0, 0, v9, s0
	v_sub_co_u32 v13, s0, v7, s18
	v_sub_co_ci_u32_e32 v8, vcc_lo, v6, v8, vcc_lo
	v_subrev_co_ci_u32_e64 v10, s0, 0, v10, s0
	v_cmp_le_u32_e32 vcc_lo, s18, v13
	v_cmp_eq_u32_e64 s0, s19, v8
	v_cndmask_b32_e64 v13, 0, -1, vcc_lo
	v_cmp_le_u32_e32 vcc_lo, s19, v10
	v_cndmask_b32_e64 v14, 0, -1, vcc_lo
	v_cmp_le_u32_e32 vcc_lo, s18, v7
	;; [unrolled: 2-line block ×3, first 2 shown]
	v_cndmask_b32_e64 v15, 0, -1, vcc_lo
	v_cmp_eq_u32_e32 vcc_lo, s19, v10
	v_cndmask_b32_e64 v7, v15, v7, s0
	v_cndmask_b32_e32 v10, v14, v13, vcc_lo
	v_add_co_u32 v13, vcc_lo, v4, 1
	v_add_co_ci_u32_e32 v14, vcc_lo, 0, v9, vcc_lo
	v_cmp_ne_u32_e32 vcc_lo, 0, v10
	v_cndmask_b32_e32 v8, v14, v12, vcc_lo
	v_cndmask_b32_e32 v10, v13, v11, vcc_lo
	v_cmp_ne_u32_e32 vcc_lo, 0, v7
	v_cndmask_b32_e32 v8, v9, v8, vcc_lo
	v_cndmask_b32_e32 v7, v4, v10, vcc_lo
.LBB0_4:                                ;   in Loop: Header=BB0_2 Depth=1
	s_andn2_saveexec_b32 s0, s1
	s_cbranch_execz .LBB0_6
; %bb.5:                                ;   in Loop: Header=BB0_2 Depth=1
	v_cvt_f32_u32_e32 v4, s18
	s_sub_i32 s1, 0, s18
	v_rcp_iflag_f32_e32 v4, v4
	v_mul_f32_e32 v4, 0x4f7ffffe, v4
	v_cvt_u32_f32_e32 v4, v4
	v_mul_lo_u32 v7, s1, v4
	v_mul_hi_u32 v7, v4, v7
	v_add_nc_u32_e32 v4, v4, v7
	v_mul_hi_u32 v4, v5, v4
	v_mul_lo_u32 v7, v4, s18
	v_add_nc_u32_e32 v8, 1, v4
	v_sub_nc_u32_e32 v7, v5, v7
	v_subrev_nc_u32_e32 v9, s18, v7
	v_cmp_le_u32_e32 vcc_lo, s18, v7
	v_cndmask_b32_e32 v7, v7, v9, vcc_lo
	v_cndmask_b32_e32 v4, v4, v8, vcc_lo
	v_cmp_le_u32_e32 vcc_lo, s18, v7
	v_add_nc_u32_e32 v8, 1, v4
	v_cndmask_b32_e32 v7, v4, v8, vcc_lo
	v_mov_b32_e32 v8, v3
.LBB0_6:                                ;   in Loop: Header=BB0_2 Depth=1
	s_or_b32 exec_lo, exec_lo, s0
	s_load_dwordx2 s[0:1], s[6:7], 0x0
	v_mul_lo_u32 v4, v8, s18
	v_mul_lo_u32 v11, v7, s19
	v_mad_u64_u32 v[9:10], null, v7, s18, 0
	s_add_u32 s16, s16, 1
	s_addc_u32 s17, s17, 0
	s_add_u32 s6, s6, 8
	s_addc_u32 s7, s7, 0
	;; [unrolled: 2-line block ×3, first 2 shown]
	v_add3_u32 v4, v10, v11, v4
	v_sub_co_u32 v5, vcc_lo, v5, v9
	v_sub_co_ci_u32_e32 v4, vcc_lo, v6, v4, vcc_lo
	s_waitcnt lgkmcnt(0)
	v_mul_lo_u32 v6, s1, v5
	v_mul_lo_u32 v4, s0, v4
	v_mad_u64_u32 v[1:2], null, s0, v5, v[1:2]
	v_cmp_ge_u64_e64 s0, s[16:17], s[10:11]
	s_and_b32 vcc_lo, exec_lo, s0
	v_add3_u32 v2, v6, v2, v4
	s_cbranch_vccnz .LBB0_9
; %bb.7:                                ;   in Loop: Header=BB0_2 Depth=1
	v_mov_b32_e32 v5, v7
	v_mov_b32_e32 v6, v8
	s_branch .LBB0_2
.LBB0_8:
	v_mov_b32_e32 v8, v6
	v_mov_b32_e32 v7, v5
.LBB0_9:
	s_lshl_b64 s[0:1], s[10:11], 3
	v_mul_hi_u32 v5, 0x1b4e81c, v0
	s_add_u32 s0, s12, s0
	s_addc_u32 s1, s13, s1
                                        ; implicit-def: $vgpr6
                                        ; implicit-def: $vgpr13
                                        ; implicit-def: $vgpr9
                                        ; implicit-def: $vgpr10
                                        ; implicit-def: $vgpr11
                                        ; implicit-def: $vgpr12
                                        ; implicit-def: $vgpr14
                                        ; implicit-def: $vgpr15
                                        ; implicit-def: $vgpr20
                                        ; implicit-def: $vgpr16
                                        ; implicit-def: $vgpr22
                                        ; implicit-def: $vgpr17
                                        ; implicit-def: $vgpr19
                                        ; implicit-def: $vgpr18
                                        ; implicit-def: $vgpr21
	s_load_dwordx2 s[0:1], s[0:1], 0x0
	s_load_dwordx2 s[4:5], s[4:5], 0x20
	s_waitcnt lgkmcnt(0)
	v_mul_lo_u32 v3, s0, v8
	v_mul_lo_u32 v4, s1, v7
	v_mad_u64_u32 v[1:2], null, s0, v7, v[1:2]
	v_cmp_gt_u64_e32 vcc_lo, s[4:5], v[7:8]
                                        ; implicit-def: $vgpr7
                                        ; implicit-def: $vgpr8
	v_add3_u32 v2, v4, v2, v3
	v_mul_u32_u24_e32 v4, 0x96, v5
                                        ; implicit-def: $vgpr5
	v_lshlrev_b64 v[2:3], 2, v[1:2]
	v_sub_nc_u32_e32 v0, v0, v4
                                        ; implicit-def: $vgpr1
                                        ; implicit-def: $vgpr4
	s_and_saveexec_b32 s1, vcc_lo
	s_cbranch_execz .LBB0_11
; %bb.10:
	v_mov_b32_e32 v1, 0
	v_lshlrev_b64 v[4:5], 2, v[0:1]
	v_add_co_u32 v1, s0, s2, v2
	v_add_co_ci_u32_e64 v7, s0, s3, v3, s0
	v_add_co_u32 v6, s0, v1, v4
	v_add_co_ci_u32_e64 v7, s0, v7, v5, s0
	;; [unrolled: 2-line block ×4, first 2 shown]
	s_clause 0x9
	global_load_dword v4, v[6:7], off
	global_load_dword v21, v[6:7], off offset:1200
	global_load_dword v19, v[8:9], off offset:352
	;; [unrolled: 1-line block ×9, first 2 shown]
	s_waitcnt vmcnt(9)
	v_lshrrev_b32_e32 v8, 16, v4
	s_waitcnt vmcnt(8)
	v_lshrrev_b32_e32 v18, 16, v21
	;; [unrolled: 2-line block ×10, first 2 shown]
.LBB0_11:
	s_or_b32 exec_lo, exec_lo, s1
	v_add_f16_e32 v23, v22, v19
	v_add_f16_e32 v24, v21, v4
	;; [unrolled: 1-line block ×3, first 2 shown]
	v_sub_f16_e32 v25, v18, v15
	v_sub_f16_e32 v26, v17, v16
	;; [unrolled: 1-line block ×3, first 2 shown]
	v_fma_f16 v23, -0.5, v23, v4
	v_sub_f16_e32 v28, v20, v22
	v_add_f16_e32 v24, v19, v24
	v_fmac_f16_e32 v4, -0.5, v29
	v_sub_f16_e32 v30, v19, v21
	v_fmamk_f16 v31, v25, 0x3b9c, v23
	v_sub_f16_e32 v32, v22, v20
	v_add_f16_e32 v27, v28, v27
	v_add_f16_e32 v24, v22, v24
	v_fmac_f16_e32 v23, 0xbb9c, v25
	v_fmamk_f16 v28, v26, 0xbb9c, v4
	v_add_f16_e32 v29, v16, v17
	v_fmac_f16_e32 v4, 0x3b9c, v26
	v_fmac_f16_e32 v31, 0x38b4, v26
	v_add_f16_e32 v24, v20, v24
	v_fmac_f16_e32 v23, 0xb8b4, v26
	v_fmac_f16_e32 v28, 0x38b4, v25
	v_add_f16_e32 v30, v32, v30
	v_add_f16_e32 v32, v18, v8
	v_fma_f16 v29, -0.5, v29, v8
	v_sub_f16_e32 v20, v21, v20
	v_fmac_f16_e32 v4, 0xb8b4, v25
	v_add_f16_e32 v25, v15, v18
	v_fmac_f16_e32 v31, 0x34f2, v27
	v_fmac_f16_e32 v23, 0x34f2, v27
	v_add_f16_e32 v21, v17, v32
	v_fmamk_f16 v26, v20, 0xbb9c, v29
	v_sub_f16_e32 v19, v19, v22
	v_sub_f16_e32 v22, v18, v17
	;; [unrolled: 1-line block ×3, first 2 shown]
	v_fmac_f16_e32 v29, 0x3b9c, v20
	v_fmac_f16_e32 v8, -0.5, v25
	v_add_f16_e32 v21, v16, v21
	v_fmac_f16_e32 v26, 0xb8b4, v19
	v_add_f16_e32 v22, v27, v22
	v_fmac_f16_e32 v29, 0x38b4, v19
	v_add_f16_e32 v25, v1, v11
	v_fmamk_f16 v27, v19, 0x3b9c, v8
	v_fmac_f16_e32 v8, 0xbb9c, v19
	v_add_f16_e32 v19, v13, v14
	v_add_f16_e32 v21, v15, v21
	v_fmac_f16_e32 v26, 0x34f2, v22
	v_sub_f16_e32 v17, v17, v18
	v_sub_f16_e32 v15, v16, v15
	v_add_f16_e32 v16, v14, v5
	v_fma_f16 v18, -0.5, v25, v5
	v_sub_f16_e32 v25, v12, v6
	v_fmac_f16_e32 v29, 0x34f2, v22
	v_sub_f16_e32 v22, v10, v9
	v_fmac_f16_e32 v5, -0.5, v19
	v_fmac_f16_e32 v28, 0x34f2, v30
	v_fmac_f16_e32 v4, 0x34f2, v30
	v_add_f16_e32 v15, v15, v17
	v_add_f16_e32 v16, v11, v16
	v_fmamk_f16 v17, v25, 0x3b9c, v18
	v_sub_f16_e32 v30, v14, v11
	v_sub_f16_e32 v32, v13, v1
	v_fmac_f16_e32 v18, 0xbb9c, v25
	v_fmamk_f16 v19, v22, 0xbb9c, v5
	v_fmac_f16_e32 v5, 0x3b9c, v22
	v_fmac_f16_e32 v27, 0xb8b4, v20
	v_add_f16_e32 v16, v1, v16
	v_fmac_f16_e32 v17, 0x38b4, v22
	v_add_f16_e32 v30, v32, v30
	v_fmac_f16_e32 v8, 0x38b4, v20
	v_sub_f16_e32 v20, v11, v14
	v_sub_f16_e32 v32, v1, v13
	v_fmac_f16_e32 v18, 0xb8b4, v22
	v_add_f16_e32 v22, v9, v10
	v_fmac_f16_e32 v19, 0x38b4, v25
	v_fmac_f16_e32 v5, 0xb8b4, v25
	v_add_f16_e32 v25, v12, v7
	v_add_f16_e32 v16, v13, v16
	;; [unrolled: 1-line block ×3, first 2 shown]
	v_fma_f16 v22, -0.5, v22, v7
	v_sub_f16_e32 v13, v14, v13
	v_add_f16_e32 v14, v10, v25
	v_fmac_f16_e32 v17, 0x34f2, v30
	v_fmac_f16_e32 v18, 0x34f2, v30
	;; [unrolled: 1-line block ×4, first 2 shown]
	v_fmamk_f16 v20, v13, 0xbb9c, v22
	v_add_f16_e32 v25, v6, v12
	v_sub_f16_e32 v1, v11, v1
	v_sub_f16_e32 v11, v12, v10
	;; [unrolled: 1-line block ×3, first 2 shown]
	v_fmac_f16_e32 v22, 0x3b9c, v13
	v_add_f16_e32 v14, v9, v14
	v_sub_f16_e32 v10, v10, v12
	v_sub_f16_e32 v9, v9, v6
	v_fmac_f16_e32 v7, -0.5, v25
	v_fmac_f16_e32 v20, 0xb8b4, v1
	v_add_f16_e32 v11, v30, v11
	v_fmac_f16_e32 v22, 0x38b4, v1
	v_add_f16_e32 v12, v6, v14
	v_add_f16_e32 v6, v9, v10
	v_fmamk_f16 v25, v1, 0x3b9c, v7
	v_fmac_f16_e32 v20, 0x34f2, v11
	v_fmac_f16_e32 v22, 0x34f2, v11
	;; [unrolled: 1-line block ×3, first 2 shown]
	v_mad_u32_u24 v1, v0, 10, 0
	v_pack_b32_f16 v10, v28, v4
	v_pack_b32_f16 v9, v24, v31
	v_mul_f16_e32 v11, 0x34f2, v6
	v_pack_b32_f16 v6, v19, v5
	v_pack_b32_f16 v5, v16, v17
	v_and_b32_e32 v16, 0xff, v0
	ds_write_b64 v1, v[9:10]
	ds_write_b16 v1, v23 offset:8
	ds_write_b64 v1, v[5:6] offset:1500
	ds_write_b16 v1, v18 offset:1508
	v_fmac_f16_e32 v25, 0xb8b4, v13
	v_mul_lo_u16 v6, 0xcd, v16
	v_fmac_f16_e32 v7, 0x38b4, v13
	v_pack_b32_f16 v8, v27, v8
	v_mov_b32_e32 v27, 9
	v_mul_f16_e32 v15, 0x34f2, v15
	v_lshrrev_b16 v17, 10, v6
	v_pack_b32_f16 v10, v25, v7
	v_lshlrev_b32_e32 v4, 3, v0
	v_pack_b32_f16 v7, v21, v26
	v_pk_add_f16 v8, v15, v8 op_sel_hi:[0,1]
	v_mul_lo_u16 v9, v17, 5
	v_pk_add_f16 v10, v11, v10 op_sel_hi:[0,1]
	v_sub_nc_u32_e32 v5, v1, v4
	s_waitcnt lgkmcnt(0)
	s_barrier
	v_sub_nc_u16 v25, v0, v9
	v_pack_b32_f16 v9, v12, v20
	buffer_gl0_inv
	ds_read_u16 v6, v5
	ds_read_u16 v18, v5 offset:300
	ds_read_u16 v19, v5 offset:600
	;; [unrolled: 1-line block ×9, first 2 shown]
	s_waitcnt lgkmcnt(0)
	v_mul_u32_u24_sdwa v11, v25, v27 dst_sel:DWORD dst_unused:UNUSED_PAD src0_sel:BYTE_0 src1_sel:DWORD
	s_barrier
	buffer_gl0_inv
	ds_write_b64 v1, v[7:8]
	ds_write_b16 v1, v29 offset:8
	ds_write_b64 v1, v[9:10] offset:1500
	ds_write_b16 v1, v22 offset:1508
	v_lshlrev_b32_e32 v15, 2, v11
	s_waitcnt lgkmcnt(0)
	s_barrier
	buffer_gl0_inv
	s_clause 0x2
	global_load_dwordx4 v[7:10], v15, s[8:9]
	global_load_dwordx4 v[11:14], v15, s[8:9] offset:16
	global_load_dword v15, v15, s[8:9] offset:32
	v_mul_lo_u16 v16, v16, 41
	v_mov_b32_e32 v26, 0x64
	ds_read_u16 v21, v5
	ds_read_u16 v22, v5 offset:300
	ds_read_u16 v29, v5 offset:600
	;; [unrolled: 1-line block ×3, first 2 shown]
	v_lshrrev_b16 v20, 11, v16
	v_mul_u32_u24_sdwa v17, v17, v26 dst_sel:DWORD dst_unused:UNUSED_PAD src0_sel:WORD_0 src1_sel:DWORD
	ds_read_u16 v26, v5 offset:1500
	ds_read_u16 v37, v5 offset:1800
	v_mov_b32_e32 v34, 1
	v_mul_lo_u16 v16, v20, 50
	v_sub_nc_u32_e32 v4, 0, v4
	v_cmp_gt_u32_e64 s0, 50, v0
	v_lshlrev_b32_sdwa v25, v34, v25 dst_sel:DWORD dst_unused:UNUSED_PAD src0_sel:DWORD src1_sel:BYTE_0
	v_sub_nc_u16 v36, v0, v16
	ds_read_u16 v16, v5 offset:1200
	ds_read_u16 v38, v5 offset:2100
	;; [unrolled: 1-line block ×4, first 2 shown]
	s_waitcnt vmcnt(0) lgkmcnt(0)
	v_add3_u32 v17, 0, v17, v25
	v_mul_u32_u24_sdwa v27, v36, v27 dst_sel:DWORD dst_unused:UNUSED_PAD src0_sel:BYTE_0 src1_sel:DWORD
	s_barrier
	buffer_gl0_inv
	v_add_nc_u32_e32 v1, v1, v4
	v_lshlrev_b32_e32 v25, 2, v27
	v_mul_f16_sdwa v27, v22, v7 dst_sel:DWORD dst_unused:UNUSED_PAD src0_sel:DWORD src1_sel:WORD_1
	v_mul_f16_sdwa v41, v18, v7 dst_sel:DWORD dst_unused:UNUSED_PAD src0_sel:DWORD src1_sel:WORD_1
	v_mul_f16_sdwa v42, v29, v8 dst_sel:DWORD dst_unused:UNUSED_PAD src0_sel:DWORD src1_sel:WORD_1
	v_mul_f16_sdwa v43, v19, v8 dst_sel:DWORD dst_unused:UNUSED_PAD src0_sel:DWORD src1_sel:WORD_1
	v_mul_f16_sdwa v44, v35, v9 dst_sel:DWORD dst_unused:UNUSED_PAD src0_sel:DWORD src1_sel:WORD_1
	v_mul_f16_sdwa v45, v23, v9 dst_sel:DWORD dst_unused:UNUSED_PAD src0_sel:DWORD src1_sel:WORD_1
	v_mul_f16_sdwa v46, v16, v10 dst_sel:DWORD dst_unused:UNUSED_PAD src0_sel:DWORD src1_sel:WORD_1
	v_mul_f16_sdwa v47, v24, v10 dst_sel:DWORD dst_unused:UNUSED_PAD src0_sel:DWORD src1_sel:WORD_1
	v_mul_f16_sdwa v48, v26, v11 dst_sel:DWORD dst_unused:UNUSED_PAD src0_sel:DWORD src1_sel:WORD_1
	v_mul_f16_sdwa v49, v28, v11 dst_sel:DWORD dst_unused:UNUSED_PAD src0_sel:DWORD src1_sel:WORD_1
	v_mul_f16_sdwa v50, v37, v12 dst_sel:DWORD dst_unused:UNUSED_PAD src0_sel:DWORD src1_sel:WORD_1
	v_mul_f16_sdwa v51, v30, v12 dst_sel:DWORD dst_unused:UNUSED_PAD src0_sel:DWORD src1_sel:WORD_1
	v_mul_f16_sdwa v52, v38, v13 dst_sel:DWORD dst_unused:UNUSED_PAD src0_sel:DWORD src1_sel:WORD_1
	v_mul_f16_sdwa v53, v31, v13 dst_sel:DWORD dst_unused:UNUSED_PAD src0_sel:DWORD src1_sel:WORD_1
	v_mul_f16_sdwa v54, v39, v14 dst_sel:DWORD dst_unused:UNUSED_PAD src0_sel:DWORD src1_sel:WORD_1
	v_mul_f16_sdwa v55, v32, v14 dst_sel:DWORD dst_unused:UNUSED_PAD src0_sel:DWORD src1_sel:WORD_1
	v_mul_f16_sdwa v56, v40, v15 dst_sel:DWORD dst_unused:UNUSED_PAD src0_sel:DWORD src1_sel:WORD_1
	v_mul_f16_sdwa v57, v33, v15 dst_sel:DWORD dst_unused:UNUSED_PAD src0_sel:DWORD src1_sel:WORD_1
	v_fma_f16 v18, v18, v7, -v27
	v_fmac_f16_e32 v41, v22, v7
	v_fma_f16 v7, v19, v8, -v42
	v_fmac_f16_e32 v43, v29, v8
	;; [unrolled: 2-line block ×9, first 2 shown]
	v_add_f16_e32 v15, v6, v7
	v_add_f16_e32 v16, v9, v11
	;; [unrolled: 1-line block ×3, first 2 shown]
	v_sub_f16_e32 v27, v9, v7
	v_sub_f16_e32 v28, v11, v13
	v_add_f16_e32 v30, v47, v51
	v_sub_f16_e32 v37, v47, v43
	v_sub_f16_e32 v38, v51, v55
	v_add_f16_e32 v56, v49, v53
	v_sub_f16_e32 v23, v7, v9
	v_add_f16_e32 v29, v21, v43
	v_sub_f16_e32 v31, v9, v11
	v_sub_f16_e32 v32, v43, v47
	;; [unrolled: 1-line block ×3, first 2 shown]
	v_add_f16_e32 v39, v18, v8
	v_add_f16_e32 v40, v10, v12
	;; [unrolled: 1-line block ×4, first 2 shown]
	v_sub_f16_e32 v24, v13, v11
	v_add_f16_e32 v48, v8, v14
	v_add_f16_e32 v35, v43, v55
	v_sub_f16_e32 v44, v8, v10
	v_sub_f16_e32 v46, v14, v12
	;; [unrolled: 1-line block ×3, first 2 shown]
	v_add_f16_e32 v54, v41, v45
	v_sub_f16_e32 v8, v8, v14
	v_fma_f16 v16, -0.5, v16, v6
	v_fmac_f16_e32 v6, -0.5, v26
	v_add_f16_e32 v26, v27, v28
	v_fma_f16 v28, -0.5, v30, v21
	v_add_f16_e32 v30, v37, v38
	v_fma_f16 v38, -0.5, v56, v41
	v_sub_f16_e32 v42, v45, v57
	v_sub_f16_e32 v58, v10, v12
	v_add_f16_e32 v27, v29, v47
	v_add_f16_e32 v29, v32, v33
	;; [unrolled: 1-line block ×3, first 2 shown]
	v_fma_f16 v32, -0.5, v40, v18
	v_fmac_f16_e32 v41, -0.5, v15
	v_sub_f16_e32 v19, v43, v55
	v_sub_f16_e32 v43, v49, v53
	;; [unrolled: 1-line block ×4, first 2 shown]
	v_add_f16_e32 v23, v23, v24
	v_sub_f16_e32 v24, v53, v57
	v_fmac_f16_e32 v18, -0.5, v48
	v_sub_f16_e32 v60, v57, v53
	v_fmac_f16_e32 v21, -0.5, v35
	v_add_f16_e32 v33, v44, v46
	v_add_f16_e32 v37, v54, v49
	v_fmamk_f16 v46, v8, 0xbb9c, v38
	v_sub_f16_e32 v22, v47, v51
	v_sub_f16_e32 v52, v12, v14
	v_add_f16_e32 v10, v10, v12
	v_fmamk_f16 v12, v42, 0x3b9c, v32
	v_fmamk_f16 v47, v58, 0x3b9c, v41
	v_add_f16_e32 v15, v45, v24
	v_fmamk_f16 v45, v43, 0xbb9c, v18
	v_fmac_f16_e32 v18, 0x3b9c, v43
	v_fmac_f16_e32 v32, 0xbb9c, v42
	;; [unrolled: 1-line block ×4, first 2 shown]
	v_sub_f16_e32 v7, v7, v13
	v_add_f16_e32 v39, v59, v60
	v_add_f16_e32 v9, v9, v11
	;; [unrolled: 1-line block ×3, first 2 shown]
	v_fmamk_f16 v44, v31, 0x3b9c, v21
	v_fmac_f16_e32 v21, 0xbb9c, v31
	v_add_f16_e32 v37, v37, v53
	v_fmac_f16_e32 v46, 0xb8b4, v58
	v_fmac_f16_e32 v12, 0x38b4, v43
	v_fmac_f16_e32 v47, 0xb8b4, v8
	v_add_f16_e32 v35, v50, v52
	v_fmamk_f16 v11, v19, 0x3b9c, v16
	v_fmac_f16_e32 v16, 0xbb9c, v19
	v_fmac_f16_e32 v45, 0x38b4, v42
	v_fmac_f16_e32 v18, 0xb8b4, v42
	v_fmamk_f16 v24, v22, 0xbb9c, v6
	v_fmac_f16_e32 v6, 0x3b9c, v22
	v_fmac_f16_e32 v32, 0xb8b4, v43
	;; [unrolled: 1-line block ×4, first 2 shown]
	v_fmamk_f16 v40, v7, 0xbb9c, v28
	v_fmac_f16_e32 v28, 0x3b9c, v7
	v_add_f16_e32 v9, v9, v13
	v_add_f16_e32 v13, v27, v55
	v_fmac_f16_e32 v44, 0xb8b4, v7
	v_fmac_f16_e32 v21, 0x38b4, v7
	v_add_f16_e32 v7, v10, v14
	v_add_f16_e32 v10, v37, v57
	v_fmac_f16_e32 v46, 0x34f2, v39
	v_fmac_f16_e32 v12, 0x34f2, v33
	;; [unrolled: 1-line block ×12, first 2 shown]
	v_add_f16_e32 v8, v9, v7
	v_add_f16_e32 v14, v13, v10
	v_sub_f16_e32 v7, v9, v7
	v_sub_f16_e32 v9, v13, v10
	v_mul_f16_e32 v10, 0x38b4, v46
	v_fmac_f16_e32 v40, 0xb8b4, v31
	v_mul_f16_e32 v13, 0x3b9c, v47
	v_mul_f16_e32 v22, 0xb8b4, v12
	v_fmac_f16_e32 v11, 0x34f2, v23
	v_fmac_f16_e32 v16, 0x34f2, v23
	v_mul_f16_e32 v15, 0x34f2, v18
	v_mul_f16_e32 v23, 0xbb9c, v45
	v_fmac_f16_e32 v24, 0x34f2, v26
	;; [unrolled: 4-line block ×3, first 2 shown]
	v_mul_f16_e32 v27, 0x3a79, v38
	v_fmac_f16_e32 v10, 0x3a79, v12
	v_fmac_f16_e32 v40, 0x34f2, v29
	;; [unrolled: 1-line block ×5, first 2 shown]
	ds_write_b16 v17, v8
	ds_write_b16 v17, v7 offset:50
	v_fma_f16 v7, v41, 0x3b9c, -v15
	v_fmac_f16_e32 v23, 0x34f2, v47
	v_fmac_f16_e32 v21, 0x34f2, v30
	v_fma_f16 v8, v38, 0x38b4, -v19
	v_fma_f16 v12, v18, 0xbb9c, -v26
	v_fmac_f16_e32 v28, 0x34f2, v29
	v_fma_f16 v15, v32, 0xb8b4, -v27
	v_add_f16_e32 v18, v11, v10
	v_add_f16_e32 v19, v24, v13
	;; [unrolled: 1-line block ×8, first 2 shown]
	v_sub_f16_e32 v10, v11, v10
	v_sub_f16_e32 v11, v24, v13
	;; [unrolled: 1-line block ×8, first 2 shown]
	ds_write_b16 v17, v18 offset:10
	ds_write_b16 v17, v19 offset:20
	;; [unrolled: 1-line block ×8, first 2 shown]
	s_waitcnt lgkmcnt(0)
	s_barrier
	buffer_gl0_inv
	ds_read_u16 v19, v5
	ds_read_u16 v33, v5 offset:300
	ds_read_u16 v35, v5 offset:600
	;; [unrolled: 1-line block ×9, first 2 shown]
	s_waitcnt lgkmcnt(0)
	s_barrier
	buffer_gl0_inv
	ds_write_b16 v17, v14
	ds_write_b16 v17, v29 offset:10
	ds_write_b16 v17, v30 offset:20
	ds_write_b16 v17, v31 offset:30
	ds_write_b16 v17, v32 offset:40
	ds_write_b16 v17, v9 offset:50
	ds_write_b16 v17, v8 offset:60
	ds_write_b16 v17, v13 offset:70
	ds_write_b16 v17, v12 offset:80
	ds_write_b16 v17, v15 offset:90
	s_waitcnt lgkmcnt(0)
	s_barrier
	buffer_gl0_inv
	s_clause 0x2
	global_load_dwordx4 v[8:11], v25, s[8:9] offset:180
	global_load_dwordx4 v[15:18], v25, s[8:9] offset:196
	global_load_dword v12, v25, s[8:9] offset:212
	v_mov_b32_e32 v6, 0x3e8
	ds_read_u16 v13, v5 offset:300
	ds_read_u16 v30, v5 offset:600
	;; [unrolled: 1-line block ×4, first 2 shown]
	v_lshlrev_b32_sdwa v14, v34, v36 dst_sel:DWORD dst_unused:UNUSED_PAD src0_sel:DWORD src1_sel:BYTE_0
	v_mul_u32_u24_sdwa v6, v20, v6 dst_sel:DWORD dst_unused:UNUSED_PAD src0_sel:WORD_0 src1_sel:DWORD
	ds_read_u16 v20, v5 offset:1500
	ds_read_u16 v34, v5 offset:1800
	;; [unrolled: 1-line block ×3, first 2 shown]
	ds_read_u16 v7, v5
	ds_read_u16 v45, v5 offset:2400
	ds_read_u16 v46, v5 offset:2700
	s_waitcnt vmcnt(0) lgkmcnt(0)
	v_add3_u32 v6, 0, v6, v14
	s_barrier
	buffer_gl0_inv
	v_mul_f16_sdwa v14, v13, v8 dst_sel:DWORD dst_unused:UNUSED_PAD src0_sel:DWORD src1_sel:WORD_1
	v_mul_f16_sdwa v37, v30, v9 dst_sel:DWORD dst_unused:UNUSED_PAD src0_sel:DWORD src1_sel:WORD_1
	v_mul_f16_sdwa v26, v35, v9 dst_sel:DWORD dst_unused:UNUSED_PAD src0_sel:DWORD src1_sel:WORD_1
	v_mul_f16_sdwa v25, v38, v10 dst_sel:DWORD dst_unused:UNUSED_PAD src0_sel:DWORD src1_sel:WORD_1
	v_mul_f16_sdwa v48, v32, v11 dst_sel:DWORD dst_unused:UNUSED_PAD src0_sel:DWORD src1_sel:WORD_1
	v_mul_f16_sdwa v49, v20, v15 dst_sel:DWORD dst_unused:UNUSED_PAD src0_sel:DWORD src1_sel:WORD_1
	v_mul_f16_sdwa v24, v40, v15 dst_sel:DWORD dst_unused:UNUSED_PAD src0_sel:DWORD src1_sel:WORD_1
	v_mul_f16_sdwa v50, v34, v16 dst_sel:DWORD dst_unused:UNUSED_PAD src0_sel:DWORD src1_sel:WORD_1
	v_mul_f16_sdwa v23, v42, v17 dst_sel:DWORD dst_unused:UNUSED_PAD src0_sel:DWORD src1_sel:WORD_1
	v_mul_f16_sdwa v52, v45, v18 dst_sel:DWORD dst_unused:UNUSED_PAD src0_sel:DWORD src1_sel:WORD_1
	v_mul_f16_sdwa v22, v33, v8 dst_sel:DWORD dst_unused:UNUSED_PAD src0_sel:DWORD src1_sel:WORD_1
	v_mul_f16_sdwa v47, v31, v10 dst_sel:DWORD dst_unused:UNUSED_PAD src0_sel:DWORD src1_sel:WORD_1
	v_mul_f16_sdwa v21, v44, v12 dst_sel:DWORD dst_unused:UNUSED_PAD src0_sel:DWORD src1_sel:WORD_1
	v_mul_f16_sdwa v27, v39, v11 dst_sel:DWORD dst_unused:UNUSED_PAD src0_sel:DWORD src1_sel:WORD_1
	v_mul_f16_sdwa v51, v36, v17 dst_sel:DWORD dst_unused:UNUSED_PAD src0_sel:DWORD src1_sel:WORD_1
	v_mul_f16_sdwa v53, v46, v12 dst_sel:DWORD dst_unused:UNUSED_PAD src0_sel:DWORD src1_sel:WORD_1
	v_mul_f16_sdwa v29, v43, v18 dst_sel:DWORD dst_unused:UNUSED_PAD src0_sel:DWORD src1_sel:WORD_1
	v_fma_f16 v14, v33, v8, -v14
	v_fma_f16 v37, v35, v9, -v37
	v_fmac_f16_e32 v26, v30, v9
	v_fmac_f16_e32 v25, v31, v10
	v_fma_f16 v31, v39, v11, -v48
	v_fma_f16 v9, v40, v15, -v49
	v_fmac_f16_e32 v24, v20, v15
	v_fma_f16 v33, v41, v16, -v50
	v_fmac_f16_e32 v23, v36, v17
	v_fma_f16 v40, v43, v18, -v52
	v_mul_f16_sdwa v28, v41, v16 dst_sel:DWORD dst_unused:UNUSED_PAD src0_sel:DWORD src1_sel:WORD_1
	v_fmac_f16_e32 v22, v13, v8
	v_fma_f16 v8, v38, v10, -v47
	v_fmac_f16_e32 v21, v46, v12
	v_fmac_f16_e32 v27, v32, v11
	v_fma_f16 v10, v42, v17, -v51
	v_fma_f16 v11, v44, v12, -v53
	v_fmac_f16_e32 v29, v45, v18
	v_sub_f16_e32 v17, v37, v31
	v_sub_f16_e32 v18, v40, v33
	;; [unrolled: 1-line block ×4, first 2 shown]
	v_add_f16_e32 v45, v24, v23
	v_fmac_f16_e32 v28, v34, v16
	v_add_f16_e32 v34, v14, v8
	v_add_f16_e32 v49, v25, v21
	;; [unrolled: 1-line block ×5, first 2 shown]
	v_sub_f16_e32 v36, v8, v9
	v_sub_f16_e32 v43, v9, v8
	;; [unrolled: 1-line block ×3, first 2 shown]
	v_add_f16_e32 v17, v17, v18
	v_add_f16_e32 v18, v30, v32
	v_fma_f16 v32, -0.5, v45, v22
	v_add_f16_e32 v13, v31, v33
	v_add_f16_e32 v20, v37, v40
	v_sub_f16_e32 v38, v11, v10
	v_sub_f16_e32 v46, v9, v10
	v_add_f16_e32 v9, v34, v9
	v_fma_f16 v34, -0.5, v49, v22
	v_sub_f16_e32 v42, v24, v23
	v_fma_f16 v30, -0.5, v35, v14
	v_fmac_f16_e32 v14, -0.5, v39
	v_sub_f16_e32 v41, v25, v21
	v_sub_f16_e32 v44, v10, v11
	;; [unrolled: 1-line block ×4, first 2 shown]
	v_add_f16_e32 v12, v12, v31
	v_fmamk_f16 v35, v8, 0xbb9c, v32
	v_sub_f16_e32 v50, v24, v25
	v_sub_f16_e32 v51, v23, v21
	v_fma_f16 v13, -0.5, v13, v19
	v_fmac_f16_e32 v19, -0.5, v20
	v_add_f16_e32 v20, v36, v38
	v_fmamk_f16 v36, v46, 0x3b9c, v34
	v_fmamk_f16 v38, v42, 0xbb9c, v14
	v_fmac_f16_e32 v14, 0x3b9c, v42
	v_fmamk_f16 v39, v41, 0x3b9c, v30
	v_fmac_f16_e32 v30, 0xbb9c, v41
	v_sub_f16_e32 v15, v26, v29
	v_add_f16_e32 v43, v43, v44
	v_add_f16_e32 v44, v47, v48
	;; [unrolled: 1-line block ×4, first 2 shown]
	v_fmac_f16_e32 v35, 0xb8b4, v46
	v_sub_f16_e32 v16, v27, v28
	v_add_f16_e32 v45, v50, v51
	v_fmac_f16_e32 v36, 0xb8b4, v8
	v_fmac_f16_e32 v34, 0xbb9c, v46
	;; [unrolled: 1-line block ×5, first 2 shown]
	v_fmamk_f16 v47, v15, 0x3b9c, v13
	v_add_f16_e32 v10, v12, v40
	v_add_f16_e32 v9, v9, v11
	v_fmac_f16_e32 v39, 0x38b4, v42
	v_fmac_f16_e32 v35, 0x34f2, v44
	v_fmamk_f16 v48, v16, 0xbb9c, v19
	v_fmac_f16_e32 v38, 0x38b4, v41
	v_fmac_f16_e32 v36, 0x34f2, v45
	;; [unrolled: 1-line block ×10, first 2 shown]
	v_add_f16_e32 v8, v10, v9
	v_sub_f16_e32 v9, v10, v9
	v_mul_f16_e32 v10, 0x38b4, v35
	v_fmac_f16_e32 v48, 0x38b4, v15
	v_fmac_f16_e32 v38, 0x34f2, v43
	v_mul_f16_e32 v11, 0x3b9c, v36
	v_fmac_f16_e32 v19, 0xb8b4, v15
	v_fmac_f16_e32 v34, 0x34f2, v45
	;; [unrolled: 3-line block ×4, first 2 shown]
	v_fmac_f16_e32 v48, 0x34f2, v18
	v_fmac_f16_e32 v11, 0x34f2, v38
	;; [unrolled: 1-line block ×3, first 2 shown]
	ds_write_b16 v6, v8
	v_fma_f16 v8, v34, 0x3b9c, -v12
	v_fmac_f16_e32 v13, 0x34f2, v17
	v_fma_f16 v12, v32, 0x38b4, -v15
	ds_write_b16 v6, v9 offset:500
	v_add_f16_e32 v9, v47, v10
	v_add_f16_e32 v15, v48, v11
	;; [unrolled: 1-line block ×4, first 2 shown]
	v_sub_f16_e32 v10, v47, v10
	v_sub_f16_e32 v11, v48, v11
	;; [unrolled: 1-line block ×4, first 2 shown]
	ds_write_b16 v6, v9 offset:100
	ds_write_b16 v6, v15 offset:200
	;; [unrolled: 1-line block ×8, first 2 shown]
	s_waitcnt lgkmcnt(0)
	s_barrier
	buffer_gl0_inv
	ds_read_u16 v11, v5
	ds_read_u16 v12, v5 offset:300
	ds_read_u16 v17, v5 offset:1300
	;; [unrolled: 1-line block ×8, first 2 shown]
                                        ; implicit-def: $vgpr9
                                        ; implicit-def: $vgpr10
	s_and_saveexec_b32 s1, s0
	s_cbranch_execz .LBB0_13
; %bb.12:
	ds_read_u16 v8, v1 offset:900
	ds_read_u16 v10, v1 offset:1900
	;; [unrolled: 1-line block ×3, first 2 shown]
.LBB0_13:
	s_or_b32 exec_lo, exec_lo, s1
	v_add_f16_e32 v5, v27, v28
	v_add_f16_e32 v41, v26, v29
	v_add_f16_e32 v4, v7, v26
	v_sub_f16_e32 v31, v31, v33
	v_add_f16_e32 v22, v22, v25
	v_fma_f16 v5, -0.5, v5, v7
	v_fmac_f16_e32 v7, -0.5, v41
	v_sub_f16_e32 v37, v37, v40
	v_sub_f16_e32 v40, v26, v27
	v_add_f16_e32 v4, v4, v27
	v_sub_f16_e32 v26, v27, v26
	v_fmamk_f16 v41, v31, 0x3b9c, v7
	v_sub_f16_e32 v27, v28, v29
	v_fmac_f16_e32 v7, 0xbb9c, v31
	v_add_f16_e32 v22, v22, v24
	v_sub_f16_e32 v42, v29, v28
	v_fmamk_f16 v33, v37, 0xbb9c, v5
	v_fmac_f16_e32 v41, 0xb8b4, v37
	v_add_f16_e32 v25, v26, v27
	v_fmac_f16_e32 v7, 0x38b4, v37
	v_fmac_f16_e32 v5, 0x3b9c, v37
	v_add_f16_e32 v4, v4, v28
	v_add_f16_e32 v22, v22, v23
	v_add_f16_e32 v40, v40, v42
	v_fmac_f16_e32 v33, 0xb8b4, v31
	v_mul_f16_e32 v23, 0xb8b4, v39
	v_mul_f16_e32 v24, 0xbb9c, v38
	v_fmac_f16_e32 v41, 0x34f2, v25
	v_fmac_f16_e32 v7, 0x34f2, v25
	v_mul_f16_e32 v25, 0x34f2, v34
	v_fmac_f16_e32 v5, 0x38b4, v31
	v_mul_f16_e32 v26, 0x3a79, v32
	v_add_f16_e32 v4, v4, v29
	v_add_f16_e32 v21, v22, v21
	v_fmac_f16_e32 v33, 0x34f2, v40
	v_fmac_f16_e32 v23, 0x3a79, v35
	;; [unrolled: 1-line block ×3, first 2 shown]
	v_fma_f16 v14, v14, 0xbb9c, -v25
	v_fmac_f16_e32 v5, 0x34f2, v40
	v_fma_f16 v22, v30, 0xb8b4, -v26
	v_add_f16_e32 v25, v4, v21
	v_add_f16_e32 v26, v33, v23
	;; [unrolled: 1-line block ×5, first 2 shown]
	v_sub_f16_e32 v4, v4, v21
	v_sub_f16_e32 v21, v33, v23
	;; [unrolled: 1-line block ×5, first 2 shown]
	s_waitcnt lgkmcnt(0)
	s_barrier
	buffer_gl0_inv
	ds_write_b16 v6, v25
	ds_write_b16 v6, v26 offset:100
	ds_write_b16 v6, v27 offset:200
	;; [unrolled: 1-line block ×9, first 2 shown]
	s_waitcnt lgkmcnt(0)
	s_barrier
	buffer_gl0_inv
	ds_read_u16 v23, v1
	ds_read_u16 v24, v1 offset:300
	ds_read_u16 v27, v1 offset:1300
	;; [unrolled: 1-line block ×8, first 2 shown]
                                        ; implicit-def: $vgpr21
                                        ; implicit-def: $vgpr22
	s_and_saveexec_b32 s1, s0
	s_cbranch_execz .LBB0_15
; %bb.14:
	ds_read_u16 v14, v1 offset:900
	ds_read_u16 v22, v1 offset:1900
	;; [unrolled: 1-line block ×3, first 2 shown]
.LBB0_15:
	s_or_b32 exec_lo, exec_lo, s1
	s_and_saveexec_b32 s1, vcc_lo
	s_cbranch_execz .LBB0_18
; %bb.16:
	v_add_nc_u32_e32 v38, 0x12c, v0
	v_mov_b32_e32 v5, 0
	v_add_nc_u32_e32 v1, 0x96, v0
	v_lshlrev_b32_e32 v4, 1, v38
	v_mul_hi_u32 v38, 0x10624dd3, v38
	v_lshlrev_b64 v[6:7], 2, v[4:5]
	v_lshlrev_b32_e32 v4, 1, v1
	v_lshrrev_b32_e32 v40, 5, v38
	v_lshlrev_b64 v[32:33], 2, v[4:5]
	v_add_co_u32 v6, vcc_lo, s8, v6
	v_add_co_ci_u32_e32 v7, vcc_lo, s9, v7, vcc_lo
	v_lshlrev_b32_e32 v4, 1, v0
	global_load_dwordx2 v[34:35], v[6:7], off offset:1980
	v_add_co_u32 v6, vcc_lo, s8, v32
	v_add_co_ci_u32_e32 v7, vcc_lo, s9, v33, vcc_lo
	global_load_dwordx2 v[32:33], v[6:7], off offset:1980
	v_lshlrev_b64 v[6:7], 2, v[4:5]
	v_mul_hi_u32 v4, 0x10624dd3, v1
	v_mov_b32_e32 v1, v5
	v_add_co_u32 v6, vcc_lo, s8, v6
	v_add_co_ci_u32_e32 v7, vcc_lo, s9, v7, vcc_lo
	v_add_co_u32 v2, vcc_lo, s2, v2
	v_add_co_ci_u32_e32 v3, vcc_lo, s3, v3, vcc_lo
	global_load_dwordx2 v[36:37], v[6:7], off offset:1980
	v_lshlrev_b64 v[6:7], 2, v[0:1]
	v_lshrrev_b32_e32 v1, 5, v4
	v_mul_u32_u24_e32 v4, 0x3e8, v1
	v_add_co_u32 v1, vcc_lo, v2, v6
	v_add_co_ci_u32_e32 v2, vcc_lo, v3, v7, vcc_lo
	v_lshlrev_b64 v[38:39], 2, v[4:5]
	v_add_co_u32 v6, vcc_lo, 0x800, v1
	v_mul_u32_u24_e32 v4, 0x3e8, v40
	v_add_co_ci_u32_e32 v7, vcc_lo, 0, v2, vcc_lo
	v_add_co_u32 v38, vcc_lo, v1, v38
	v_add_co_ci_u32_e32 v39, vcc_lo, v2, v39, vcc_lo
	v_lshlrev_b64 v[3:4], 2, v[4:5]
	v_add_co_u32 v40, vcc_lo, 0x258, v38
	v_add_co_ci_u32_e32 v41, vcc_lo, 0, v39, vcc_lo
	v_add_co_u32 v3, vcc_lo, v1, v3
	v_add_co_ci_u32_e32 v4, vcc_lo, v2, v4, vcc_lo
	;; [unrolled: 2-line block ×5, first 2 shown]
	s_waitcnt vmcnt(2) lgkmcnt(3)
	v_mul_f16_sdwa v48, v30, v34 dst_sel:DWORD dst_unused:UNUSED_PAD src0_sel:DWORD src1_sel:WORD_1
	s_waitcnt lgkmcnt(0)
	v_mul_f16_sdwa v49, v31, v35 dst_sel:DWORD dst_unused:UNUSED_PAD src0_sel:DWORD src1_sel:WORD_1
	v_mul_f16_sdwa v50, v19, v34 dst_sel:DWORD dst_unused:UNUSED_PAD src0_sel:DWORD src1_sel:WORD_1
	;; [unrolled: 1-line block ×3, first 2 shown]
	v_fma_f16 v19, v19, v34, -v48
	v_fma_f16 v20, v20, v35, -v49
	v_fmac_f16_e32 v50, v30, v34
	v_fmac_f16_e32 v51, v31, v35
	s_waitcnt vmcnt(1)
	v_mul_f16_sdwa v30, v27, v32 dst_sel:DWORD dst_unused:UNUSED_PAD src0_sel:DWORD src1_sel:WORD_1
	v_mul_f16_sdwa v31, v28, v33 dst_sel:DWORD dst_unused:UNUSED_PAD src0_sel:DWORD src1_sel:WORD_1
	;; [unrolled: 1-line block ×4, first 2 shown]
	v_add_f16_e32 v49, v50, v51
	v_fma_f16 v17, v17, v32, -v30
	v_fma_f16 v18, v18, v33, -v31
	v_fmac_f16_e32 v34, v27, v32
	v_fmac_f16_e32 v35, v28, v33
	v_sub_f16_e32 v48, v19, v20
	v_add_f16_e32 v52, v29, v50
	v_add_f16_e32 v53, v19, v20
	;; [unrolled: 1-line block ×3, first 2 shown]
	v_fma_f16 v29, -0.5, v49, v29
	s_waitcnt vmcnt(0)
	v_mul_f16_sdwa v27, v26, v36 dst_sel:DWORD dst_unused:UNUSED_PAD src0_sel:DWORD src1_sel:WORD_1
	v_mul_f16_sdwa v28, v25, v37 dst_sel:DWORD dst_unused:UNUSED_PAD src0_sel:DWORD src1_sel:WORD_1
	;; [unrolled: 1-line block ×4, first 2 shown]
	v_add_f16_e32 v49, v24, v34
	v_fma_f16 v15, v15, v36, -v27
	v_fma_f16 v13, v13, v37, -v28
	v_fmac_f16_e32 v30, v26, v36
	v_fmac_f16_e32 v31, v25, v37
	v_sub_f16_e32 v50, v50, v51
	v_add_f16_e32 v32, v52, v51
	v_add_f16_e32 v19, v19, v20
	v_sub_f16_e32 v20, v17, v18
	v_add_f16_e32 v33, v34, v35
	v_add_f16_e32 v51, v17, v18
	;; [unrolled: 1-line block ×3, first 2 shown]
	v_sub_f16_e32 v34, v34, v35
	v_add_f16_e32 v27, v49, v35
	v_add_f16_e32 v28, v30, v31
	;; [unrolled: 1-line block ×3, first 2 shown]
	v_fma_f16 v24, -0.5, v33, v24
	v_add_f16_e32 v17, v17, v18
	v_sub_f16_e32 v18, v15, v13
	v_add_f16_e32 v33, v23, v30
	v_add_f16_e32 v15, v11, v15
	v_fma_f16 v12, -0.5, v51, v12
	v_sub_f16_e32 v30, v30, v31
	v_fma_f16 v23, -0.5, v28, v23
	v_fma_f16 v11, -0.5, v35, v11
	;; [unrolled: 1-line block ×3, first 2 shown]
	v_add_f16_e32 v28, v33, v31
	v_add_f16_e32 v13, v15, v13
	v_pack_b32_f16 v19, v19, v32
	v_fmamk_f16 v32, v20, 0x3aee, v24
	v_fmac_f16_e32 v24, 0xbaee, v20
	v_fmamk_f16 v20, v34, 0xbaee, v12
	v_pack_b32_f16 v15, v17, v27
	v_fmamk_f16 v17, v18, 0x3aee, v23
	v_fmac_f16_e32 v23, 0xbaee, v18
	v_fmamk_f16 v18, v30, 0xbaee, v11
	v_fmac_f16_e32 v11, 0x3aee, v30
	;; [unrolled: 2-line block ×4, first 2 shown]
	v_fmac_f16_e32 v12, 0x3aee, v34
	v_pack_b32_f16 v13, v13, v28
	v_pack_b32_f16 v20, v20, v32
	;; [unrolled: 1-line block ×7, first 2 shown]
	global_store_dword v[1:2], v13, off
	global_store_dword v[42:43], v20, off offset:504
	global_store_dword v[1:2], v11, off offset:2000
	;; [unrolled: 1-line block ×8, first 2 shown]
	s_and_b32 exec_lo, exec_lo, s0
	s_cbranch_execz .LBB0_18
; %bb.17:
	v_mov_b32_e32 v3, 0x1c2
	v_cndmask_b32_e64 v3, 0xffffffce, v3, s0
	v_add_lshl_u32 v4, v0, v3, 1
	v_lshlrev_b64 v[3:4], 2, v[4:5]
	v_add_co_u32 v3, vcc_lo, s8, v3
	v_add_co_ci_u32_e32 v4, vcc_lo, s9, v4, vcc_lo
	global_load_dwordx2 v[3:4], v[3:4], off offset:1980
	s_waitcnt vmcnt(0)
	v_mul_f16_sdwa v0, v22, v3 dst_sel:DWORD dst_unused:UNUSED_PAD src0_sel:DWORD src1_sel:WORD_1
	v_mul_f16_sdwa v5, v21, v4 dst_sel:DWORD dst_unused:UNUSED_PAD src0_sel:DWORD src1_sel:WORD_1
	;; [unrolled: 1-line block ×4, first 2 shown]
	v_fma_f16 v0, v10, v3, -v0
	v_fma_f16 v5, v9, v4, -v5
	v_fmac_f16_e32 v11, v22, v3
	v_fmac_f16_e32 v12, v21, v4
	v_add_f16_e32 v4, v8, v0
	v_add_f16_e32 v3, v0, v5
	v_sub_f16_e32 v0, v0, v5
	v_add_f16_e32 v9, v11, v12
	v_sub_f16_e32 v10, v11, v12
	v_add_f16_e32 v11, v14, v11
	v_fmac_f16_e32 v8, -0.5, v3
	v_add_f16_e32 v5, v4, v5
	v_fmac_f16_e32 v14, -0.5, v9
	v_add_co_u32 v3, vcc_lo, 0x1000, v1
	v_add_f16_e32 v9, v11, v12
	v_fmamk_f16 v11, v10, 0x3aee, v8
	v_fmac_f16_e32 v8, 0xbaee, v10
	v_fmamk_f16 v10, v0, 0xbaee, v14
	v_fmac_f16_e32 v14, 0x3aee, v0
	v_pack_b32_f16 v0, v5, v9
	v_add_co_ci_u32_e32 v4, vcc_lo, 0, v2, vcc_lo
	v_pack_b32_f16 v5, v11, v10
	v_pack_b32_f16 v8, v8, v14
	global_store_dword v[1:2], v0, off offset:1800
	global_store_dword v[6:7], v5, off offset:1752
	;; [unrolled: 1-line block ×3, first 2 shown]
.LBB0_18:
	s_endpgm
	.section	.rodata,"a",@progbits
	.p2align	6, 0x0
	.amdhsa_kernel fft_rtc_fwd_len1500_factors_5_10_10_3_wgs_150_tpt_150_halfLds_half_ip_CI_unitstride_sbrr_dirReg
		.amdhsa_group_segment_fixed_size 0
		.amdhsa_private_segment_fixed_size 0
		.amdhsa_kernarg_size 88
		.amdhsa_user_sgpr_count 6
		.amdhsa_user_sgpr_private_segment_buffer 1
		.amdhsa_user_sgpr_dispatch_ptr 0
		.amdhsa_user_sgpr_queue_ptr 0
		.amdhsa_user_sgpr_kernarg_segment_ptr 1
		.amdhsa_user_sgpr_dispatch_id 0
		.amdhsa_user_sgpr_flat_scratch_init 0
		.amdhsa_user_sgpr_private_segment_size 0
		.amdhsa_wavefront_size32 1
		.amdhsa_uses_dynamic_stack 0
		.amdhsa_system_sgpr_private_segment_wavefront_offset 0
		.amdhsa_system_sgpr_workgroup_id_x 1
		.amdhsa_system_sgpr_workgroup_id_y 0
		.amdhsa_system_sgpr_workgroup_id_z 0
		.amdhsa_system_sgpr_workgroup_info 0
		.amdhsa_system_vgpr_workitem_id 0
		.amdhsa_next_free_vgpr 61
		.amdhsa_next_free_sgpr 21
		.amdhsa_reserve_vcc 1
		.amdhsa_reserve_flat_scratch 0
		.amdhsa_float_round_mode_32 0
		.amdhsa_float_round_mode_16_64 0
		.amdhsa_float_denorm_mode_32 3
		.amdhsa_float_denorm_mode_16_64 3
		.amdhsa_dx10_clamp 1
		.amdhsa_ieee_mode 1
		.amdhsa_fp16_overflow 0
		.amdhsa_workgroup_processor_mode 1
		.amdhsa_memory_ordered 1
		.amdhsa_forward_progress 0
		.amdhsa_shared_vgpr_count 0
		.amdhsa_exception_fp_ieee_invalid_op 0
		.amdhsa_exception_fp_denorm_src 0
		.amdhsa_exception_fp_ieee_div_zero 0
		.amdhsa_exception_fp_ieee_overflow 0
		.amdhsa_exception_fp_ieee_underflow 0
		.amdhsa_exception_fp_ieee_inexact 0
		.amdhsa_exception_int_div_zero 0
	.end_amdhsa_kernel
	.text
.Lfunc_end0:
	.size	fft_rtc_fwd_len1500_factors_5_10_10_3_wgs_150_tpt_150_halfLds_half_ip_CI_unitstride_sbrr_dirReg, .Lfunc_end0-fft_rtc_fwd_len1500_factors_5_10_10_3_wgs_150_tpt_150_halfLds_half_ip_CI_unitstride_sbrr_dirReg
                                        ; -- End function
	.section	.AMDGPU.csdata,"",@progbits
; Kernel info:
; codeLenInByte = 6904
; NumSgprs: 23
; NumVgprs: 61
; ScratchSize: 0
; MemoryBound: 0
; FloatMode: 240
; IeeeMode: 1
; LDSByteSize: 0 bytes/workgroup (compile time only)
; SGPRBlocks: 2
; VGPRBlocks: 7
; NumSGPRsForWavesPerEU: 23
; NumVGPRsForWavesPerEU: 61
; Occupancy: 15
; WaveLimiterHint : 1
; COMPUTE_PGM_RSRC2:SCRATCH_EN: 0
; COMPUTE_PGM_RSRC2:USER_SGPR: 6
; COMPUTE_PGM_RSRC2:TRAP_HANDLER: 0
; COMPUTE_PGM_RSRC2:TGID_X_EN: 1
; COMPUTE_PGM_RSRC2:TGID_Y_EN: 0
; COMPUTE_PGM_RSRC2:TGID_Z_EN: 0
; COMPUTE_PGM_RSRC2:TIDIG_COMP_CNT: 0
	.text
	.p2alignl 6, 3214868480
	.fill 48, 4, 3214868480
	.type	__hip_cuid_1d022b4f65068255,@object ; @__hip_cuid_1d022b4f65068255
	.section	.bss,"aw",@nobits
	.globl	__hip_cuid_1d022b4f65068255
__hip_cuid_1d022b4f65068255:
	.byte	0                               ; 0x0
	.size	__hip_cuid_1d022b4f65068255, 1

	.ident	"AMD clang version 19.0.0git (https://github.com/RadeonOpenCompute/llvm-project roc-6.4.0 25133 c7fe45cf4b819c5991fe208aaa96edf142730f1d)"
	.section	".note.GNU-stack","",@progbits
	.addrsig
	.addrsig_sym __hip_cuid_1d022b4f65068255
	.amdgpu_metadata
---
amdhsa.kernels:
  - .args:
      - .actual_access:  read_only
        .address_space:  global
        .offset:         0
        .size:           8
        .value_kind:     global_buffer
      - .offset:         8
        .size:           8
        .value_kind:     by_value
      - .actual_access:  read_only
        .address_space:  global
        .offset:         16
        .size:           8
        .value_kind:     global_buffer
      - .actual_access:  read_only
        .address_space:  global
        .offset:         24
        .size:           8
        .value_kind:     global_buffer
      - .offset:         32
        .size:           8
        .value_kind:     by_value
      - .actual_access:  read_only
        .address_space:  global
        .offset:         40
        .size:           8
        .value_kind:     global_buffer
      - .actual_access:  read_only
        .address_space:  global
        .offset:         48
        .size:           8
        .value_kind:     global_buffer
      - .offset:         56
        .size:           4
        .value_kind:     by_value
      - .actual_access:  read_only
        .address_space:  global
        .offset:         64
        .size:           8
        .value_kind:     global_buffer
      - .actual_access:  read_only
        .address_space:  global
        .offset:         72
        .size:           8
        .value_kind:     global_buffer
      - .address_space:  global
        .offset:         80
        .size:           8
        .value_kind:     global_buffer
    .group_segment_fixed_size: 0
    .kernarg_segment_align: 8
    .kernarg_segment_size: 88
    .language:       OpenCL C
    .language_version:
      - 2
      - 0
    .max_flat_workgroup_size: 150
    .name:           fft_rtc_fwd_len1500_factors_5_10_10_3_wgs_150_tpt_150_halfLds_half_ip_CI_unitstride_sbrr_dirReg
    .private_segment_fixed_size: 0
    .sgpr_count:     23
    .sgpr_spill_count: 0
    .symbol:         fft_rtc_fwd_len1500_factors_5_10_10_3_wgs_150_tpt_150_halfLds_half_ip_CI_unitstride_sbrr_dirReg.kd
    .uniform_work_group_size: 1
    .uses_dynamic_stack: false
    .vgpr_count:     61
    .vgpr_spill_count: 0
    .wavefront_size: 32
    .workgroup_processor_mode: 1
amdhsa.target:   amdgcn-amd-amdhsa--gfx1030
amdhsa.version:
  - 1
  - 2
...

	.end_amdgpu_metadata
